;; amdgpu-corpus repo=zjin-lcf/HeCBench kind=compiled arch=gfx1250 opt=O3
	.amdgcn_target "amdgcn-amd-amdhsa--gfx1250"
	.amdhsa_code_object_version 6
	.text
	.protected	_Z10SimulationPfS_PKfS1_Pmmjif ; -- Begin function _Z10SimulationPfS_PKfS1_Pmmjif
	.globl	_Z10SimulationPfS_PKfS1_Pmmjif
	.p2align	8
	.type	_Z10SimulationPfS_PKfS1_Pmmjif,@function
_Z10SimulationPfS_PKfS1_Pmmjif:         ; @_Z10SimulationPfS_PKfS1_Pmmjif
; %bb.0:
	s_clause 0x1
	s_load_b32 s4, s[0:1], 0x4c
	s_load_b64 s[2:3], s[0:1], 0x28
	s_bfe_u32 s5, ttmp6, 0x4000c
	s_and_b32 s6, ttmp6, 15
	s_add_co_i32 s5, s5, 1
	s_getreg_b32 s7, hwreg(HW_REG_IB_STS2, 6, 4)
	s_mul_i32 s5, ttmp9, s5
	v_mov_b32_e32 v9, 0
	s_add_co_i32 s6, s6, s5
	s_wait_kmcnt 0x0
	s_and_b32 s4, s4, 0xffff
	s_cmp_eq_u32 s7, 0
	s_cselect_b32 s5, ttmp9, s6
	s_delay_alu instid0(SALU_CYCLE_1) | instskip(SKIP_1) | instid1(VALU_DEP_1)
	v_mad_u32 v8, s5, s4, v0
	s_mov_b32 s4, exec_lo
	v_cmpx_gt_u64_e64 s[2:3], v[8:9]
	s_cbranch_execz .LBB0_8
; %bb.1:
	s_clause 0x1
	s_load_b128 s[4:7], s[0:1], 0x0
	s_load_b96 s[8:10], s[0:1], 0x30
	v_lshlrev_b64_e32 v[6:7], 2, v[8:9]
	s_wait_kmcnt 0x0
	s_delay_alu instid0(VALU_DEP_1)
	v_add_nc_u64_e32 v[0:1], s[4:5], v[6:7]
	v_add_nc_u64_e32 v[2:3], s[6:7], v[6:7]
	s_cmp_eq_u32 s8, 0
	global_load_b32 v5, v[0:1], off
	global_load_b32 v4, v[2:3], off
	s_cbranch_scc1 .LBB0_7
; %bb.2:
	s_ashr_i32 s5, s9, 31
	s_mov_b32 s4, s9
	s_cvt_f32_i32 s14, s9
	s_mul_u64 s[4:5], s[4:5], s[4:5]
	s_mul_f32 s15, s10, s10
	v_mul_u64_e32 v[8:9], s[4:5], v[8:9]
	s_clause 0x1
	s_load_b64 s[16:17], s[0:1], 0x20
	s_load_b128 s[4:7], s[0:1], 0x10
	s_mov_b32 s13, 0
	s_mov_b32 s12, s8
	s_lshl_b64 s[10:11], s[2:3], 2
	s_mov_b32 s8, 0xbd4ac083
	s_wait_kmcnt 0x0
	s_delay_alu instid0(VALU_DEP_1)
	v_lshl_add_u64 v[8:9], v[8:9], 3, s[16:17]
	s_branch .LBB0_4
.LBB0_3:                                ;   in Loop: Header=BB0_4 Depth=1
	s_wait_xcnt 0x0
	s_or_b32 exec_lo, exec_lo, s3
	v_add_nc_u64_e32 v[6:7], s[10:11], v[6:7]
	s_add_nc_u64 s[12:13], s[12:13], -1
	s_delay_alu instid0(SALU_CYCLE_1)
	s_cmp_lg_u64 s[12:13], 0
	s_cbranch_scc0 .LBB0_7
.LBB0_4:                                ; =>This Inner Loop Header: Depth=1
	s_delay_alu instid0(VALU_DEP_1)
	v_add_nc_u64_e32 v[10:11], s[4:5], v[6:7]
	v_add_nc_u64_e32 v[12:13], s[6:7], v[6:7]
	s_mov_b32 s3, exec_lo
	global_load_b32 v14, v[10:11], off
	global_load_b32 v15, v[12:13], off
	s_wait_loadcnt 0x1
	s_wait_xcnt 0x1
	v_div_scale_f32 v10, null, 0x447a0000, 0x447a0000, v14
	s_wait_loadcnt 0x0
	v_div_scale_f32 v11, null, 0x447a0000, 0x447a0000, v15
	v_div_scale_f32 v18, vcc_lo, v14, 0x447a0000, v14
	s_wait_xcnt 0x0
	v_rcp_f32_e32 v12, v10
	s_delay_alu instid0(VALU_DEP_2) | instskip(NEXT) | instid1(TRANS32_DEP_2)
	v_rcp_f32_e32 v13, v11
	v_fma_f32 v16, -v10, v12, 1.0
	s_delay_alu instid0(TRANS32_DEP_1) | instskip(NEXT) | instid1(VALU_DEP_1)
	v_fma_f32 v17, -v11, v13, 1.0
	v_dual_fmac_f32 v12, v16, v12 :: v_dual_fmac_f32 v13, v17, v13
	v_div_scale_f32 v16, s0, v15, 0x447a0000, v15
	s_delay_alu instid0(VALU_DEP_1) | instskip(NEXT) | instid1(VALU_DEP_1)
	v_dual_mul_f32 v17, v18, v12 :: v_dual_mul_f32 v19, v16, v13
	v_dual_fma_f32 v20, -v10, v17, v18 :: v_dual_fma_f32 v21, -v11, v19, v16
	s_delay_alu instid0(VALU_DEP_1) | instskip(NEXT) | instid1(VALU_DEP_1)
	v_dual_fmac_f32 v17, v20, v12 :: v_dual_fmac_f32 v19, v21, v13
	v_dual_fma_f32 v10, -v10, v17, v18 :: v_dual_fma_f32 v11, -v11, v19, v16
	s_delay_alu instid0(VALU_DEP_1) | instskip(SKIP_1) | instid1(VALU_DEP_2)
	v_div_fmas_f32 v10, v10, v12, v17
	s_mov_b32 vcc_lo, s0
	v_div_fmas_f32 v12, v11, v13, v19
	s_delay_alu instid0(VALU_DEP_2) | instskip(NEXT) | instid1(VALU_DEP_2)
	v_div_fixup_f32 v11, v10, 0x447a0000, v14
	v_div_fixup_f32 v10, v12, 0x447a0000, v15
	s_delay_alu instid0(VALU_DEP_1) | instskip(NEXT) | instid1(VALU_DEP_1)
	v_pk_add_f32 v[10:11], v[10:11], s[8:9] op_sel_hi:[1,0]
	v_pk_add_f32 v[4:5], v[4:5], v[10:11]
	s_delay_alu instid0(VALU_DEP_1)
	v_cmpx_gt_f32_e32 s14, v5
	s_cbranch_execz .LBB0_3
; %bb.5:                                ;   in Loop: Header=BB0_4 Depth=1
	s_delay_alu instid0(VALU_DEP_2) | instskip(SKIP_4) | instid1(VALU_DEP_4)
	v_trunc_f32_e32 v10, v4
	v_trunc_f32_e32 v11, v5
	v_cmp_le_f32_e32 vcc_lo, 0, v5
	v_cmp_le_f32_e64 s0, 0, v4
	v_cmp_gt_f32_e64 s1, s14, v4
	v_pk_add_f32 v[10:11], v[4:5], v[10:11] neg_lo:[0,1] neg_hi:[0,1]
	s_and_b32 s0, vcc_lo, s0
	s_delay_alu instid0(SALU_CYCLE_1) | instskip(NEXT) | instid1(VALU_DEP_1)
	s_and_b32 s0, s0, s1
	v_mul_f32_e32 v12, v11, v11
	s_delay_alu instid0(VALU_DEP_1) | instskip(NEXT) | instid1(VALU_DEP_1)
	v_pk_fma_f32 v[10:11], v[10:11], v[10:11], v[12:13] op_sel_hi:[1,1,0]
	v_cmp_ge_f32_e64 s2, s15, v10
	s_and_b32 s0, s0, s2
	s_delay_alu instid0(SALU_CYCLE_1)
	s_and_b32 exec_lo, exec_lo, s0
	s_cbranch_execz .LBB0_3
; %bb.6:                                ;   in Loop: Header=BB0_4 Depth=1
	v_floor_f32_e32 v10, v4
	v_floor_f32_e32 v11, v5
	s_delay_alu instid0(VALU_DEP_2) | instskip(NEXT) | instid1(VALU_DEP_2)
	v_cvt_i32_f32_e32 v10, v10
	v_cvt_i32_f32_e32 v12, v11
	s_delay_alu instid0(VALU_DEP_2) | instskip(NEXT) | instid1(VALU_DEP_1)
	v_mul_lo_u32 v10, s9, v10
	v_dual_ashrrev_i32 v13, 31, v12 :: v_dual_ashrrev_i32 v11, 31, v10
	s_delay_alu instid0(VALU_DEP_1) | instskip(NEXT) | instid1(VALU_DEP_1)
	v_lshl_add_u64 v[10:11], v[10:11], 3, v[8:9]
	v_lshl_add_u64 v[10:11], v[12:13], 3, v[10:11]
	global_load_b64 v[12:13], v[10:11], off
	s_wait_loadcnt 0x0
	v_add_nc_u64_e32 v[12:13], 1, v[12:13]
	global_store_b64 v[10:11], v[12:13], off
	s_branch .LBB0_3
.LBB0_7:
	s_wait_loadcnt 0x1
	global_store_b32 v[0:1], v5, off
	s_wait_loadcnt 0x0
	global_store_b32 v[2:3], v4, off
.LBB0_8:
	s_endpgm
	.section	.rodata,"a",@progbits
	.p2align	6, 0x0
	.amdhsa_kernel _Z10SimulationPfS_PKfS1_Pmmjif
		.amdhsa_group_segment_fixed_size 0
		.amdhsa_private_segment_fixed_size 0
		.amdhsa_kernarg_size 320
		.amdhsa_user_sgpr_count 2
		.amdhsa_user_sgpr_dispatch_ptr 0
		.amdhsa_user_sgpr_queue_ptr 0
		.amdhsa_user_sgpr_kernarg_segment_ptr 1
		.amdhsa_user_sgpr_dispatch_id 0
		.amdhsa_user_sgpr_kernarg_preload_length 0
		.amdhsa_user_sgpr_kernarg_preload_offset 0
		.amdhsa_user_sgpr_private_segment_size 0
		.amdhsa_wavefront_size32 1
		.amdhsa_uses_dynamic_stack 0
		.amdhsa_enable_private_segment 0
		.amdhsa_system_sgpr_workgroup_id_x 1
		.amdhsa_system_sgpr_workgroup_id_y 0
		.amdhsa_system_sgpr_workgroup_id_z 0
		.amdhsa_system_sgpr_workgroup_info 0
		.amdhsa_system_vgpr_workitem_id 0
		.amdhsa_next_free_vgpr 22
		.amdhsa_next_free_sgpr 18
		.amdhsa_named_barrier_count 0
		.amdhsa_reserve_vcc 1
		.amdhsa_float_round_mode_32 0
		.amdhsa_float_round_mode_16_64 0
		.amdhsa_float_denorm_mode_32 3
		.amdhsa_float_denorm_mode_16_64 3
		.amdhsa_fp16_overflow 0
		.amdhsa_memory_ordered 1
		.amdhsa_forward_progress 1
		.amdhsa_inst_pref_size 7
		.amdhsa_round_robin_scheduling 0
		.amdhsa_exception_fp_ieee_invalid_op 0
		.amdhsa_exception_fp_denorm_src 0
		.amdhsa_exception_fp_ieee_div_zero 0
		.amdhsa_exception_fp_ieee_overflow 0
		.amdhsa_exception_fp_ieee_underflow 0
		.amdhsa_exception_fp_ieee_inexact 0
		.amdhsa_exception_int_div_zero 0
	.end_amdhsa_kernel
	.text
.Lfunc_end0:
	.size	_Z10SimulationPfS_PKfS1_Pmmjif, .Lfunc_end0-_Z10SimulationPfS_PKfS1_Pmmjif
                                        ; -- End function
	.set _Z10SimulationPfS_PKfS1_Pmmjif.num_vgpr, 22
	.set _Z10SimulationPfS_PKfS1_Pmmjif.num_agpr, 0
	.set _Z10SimulationPfS_PKfS1_Pmmjif.numbered_sgpr, 18
	.set _Z10SimulationPfS_PKfS1_Pmmjif.num_named_barrier, 0
	.set _Z10SimulationPfS_PKfS1_Pmmjif.private_seg_size, 0
	.set _Z10SimulationPfS_PKfS1_Pmmjif.uses_vcc, 1
	.set _Z10SimulationPfS_PKfS1_Pmmjif.uses_flat_scratch, 0
	.set _Z10SimulationPfS_PKfS1_Pmmjif.has_dyn_sized_stack, 0
	.set _Z10SimulationPfS_PKfS1_Pmmjif.has_recursion, 0
	.set _Z10SimulationPfS_PKfS1_Pmmjif.has_indirect_call, 0
	.section	.AMDGPU.csdata,"",@progbits
; Kernel info:
; codeLenInByte = 796
; TotalNumSgprs: 20
; NumVgprs: 22
; ScratchSize: 0
; MemoryBound: 0
; FloatMode: 240
; IeeeMode: 1
; LDSByteSize: 0 bytes/workgroup (compile time only)
; SGPRBlocks: 0
; VGPRBlocks: 1
; NumSGPRsForWavesPerEU: 20
; NumVGPRsForWavesPerEU: 22
; NamedBarCnt: 0
; Occupancy: 16
; WaveLimiterHint : 0
; COMPUTE_PGM_RSRC2:SCRATCH_EN: 0
; COMPUTE_PGM_RSRC2:USER_SGPR: 2
; COMPUTE_PGM_RSRC2:TRAP_HANDLER: 0
; COMPUTE_PGM_RSRC2:TGID_X_EN: 1
; COMPUTE_PGM_RSRC2:TGID_Y_EN: 0
; COMPUTE_PGM_RSRC2:TGID_Z_EN: 0
; COMPUTE_PGM_RSRC2:TIDIG_COMP_CNT: 0
	.text
	.p2alignl 7, 3214868480
	.fill 96, 4, 3214868480
	.section	.AMDGPU.gpr_maximums,"",@progbits
	.set amdgpu.max_num_vgpr, 0
	.set amdgpu.max_num_agpr, 0
	.set amdgpu.max_num_sgpr, 0
	.text
	.type	__hip_cuid_c3d35b8a18f35307,@object ; @__hip_cuid_c3d35b8a18f35307
	.section	.bss,"aw",@nobits
	.globl	__hip_cuid_c3d35b8a18f35307
__hip_cuid_c3d35b8a18f35307:
	.byte	0                               ; 0x0
	.size	__hip_cuid_c3d35b8a18f35307, 1

	.ident	"AMD clang version 22.0.0git (https://github.com/RadeonOpenCompute/llvm-project roc-7.2.4 26084 f58b06dce1f9c15707c5f808fd002e18c2accf7e)"
	.section	".note.GNU-stack","",@progbits
	.addrsig
	.addrsig_sym __hip_cuid_c3d35b8a18f35307
	.amdgpu_metadata
---
amdhsa.kernels:
  - .args:
      - .address_space:  global
        .offset:         0
        .size:           8
        .value_kind:     global_buffer
      - .address_space:  global
        .offset:         8
        .size:           8
        .value_kind:     global_buffer
      - .actual_access:  read_only
        .address_space:  global
        .offset:         16
        .size:           8
        .value_kind:     global_buffer
      - .actual_access:  read_only
        .address_space:  global
        .offset:         24
        .size:           8
        .value_kind:     global_buffer
      - .address_space:  global
        .offset:         32
        .size:           8
        .value_kind:     global_buffer
      - .offset:         40
        .size:           8
        .value_kind:     by_value
      - .offset:         48
        .size:           4
        .value_kind:     by_value
      - .offset:         52
        .size:           4
        .value_kind:     by_value
      - .offset:         56
        .size:           4
        .value_kind:     by_value
      - .offset:         64
        .size:           4
        .value_kind:     hidden_block_count_x
      - .offset:         68
        .size:           4
        .value_kind:     hidden_block_count_y
      - .offset:         72
        .size:           4
        .value_kind:     hidden_block_count_z
      - .offset:         76
        .size:           2
        .value_kind:     hidden_group_size_x
      - .offset:         78
        .size:           2
        .value_kind:     hidden_group_size_y
      - .offset:         80
        .size:           2
        .value_kind:     hidden_group_size_z
      - .offset:         82
        .size:           2
        .value_kind:     hidden_remainder_x
      - .offset:         84
        .size:           2
        .value_kind:     hidden_remainder_y
      - .offset:         86
        .size:           2
        .value_kind:     hidden_remainder_z
      - .offset:         104
        .size:           8
        .value_kind:     hidden_global_offset_x
      - .offset:         112
        .size:           8
        .value_kind:     hidden_global_offset_y
      - .offset:         120
        .size:           8
        .value_kind:     hidden_global_offset_z
      - .offset:         128
        .size:           2
        .value_kind:     hidden_grid_dims
    .group_segment_fixed_size: 0
    .kernarg_segment_align: 8
    .kernarg_segment_size: 320
    .language:       OpenCL C
    .language_version:
      - 2
      - 0
    .max_flat_workgroup_size: 1024
    .name:           _Z10SimulationPfS_PKfS1_Pmmjif
    .private_segment_fixed_size: 0
    .sgpr_count:     20
    .sgpr_spill_count: 0
    .symbol:         _Z10SimulationPfS_PKfS1_Pmmjif.kd
    .uniform_work_group_size: 1
    .uses_dynamic_stack: false
    .vgpr_count:     22
    .vgpr_spill_count: 0
    .wavefront_size: 32
amdhsa.target:   amdgcn-amd-amdhsa--gfx1250
amdhsa.version:
  - 1
  - 2
...

	.end_amdgpu_metadata
